;; amdgpu-corpus repo=ROCm/rocFFT kind=compiled arch=gfx1100 opt=O3
	.text
	.amdgcn_target "amdgcn-amd-amdhsa--gfx1100"
	.amdhsa_code_object_version 6
	.protected	fft_rtc_back_len567_factors_7_9_3_3_wgs_63_tpt_63_dp_op_CI_CI_unitstride_sbrr_dirReg ; -- Begin function fft_rtc_back_len567_factors_7_9_3_3_wgs_63_tpt_63_dp_op_CI_CI_unitstride_sbrr_dirReg
	.globl	fft_rtc_back_len567_factors_7_9_3_3_wgs_63_tpt_63_dp_op_CI_CI_unitstride_sbrr_dirReg
	.p2align	8
	.type	fft_rtc_back_len567_factors_7_9_3_3_wgs_63_tpt_63_dp_op_CI_CI_unitstride_sbrr_dirReg,@function
fft_rtc_back_len567_factors_7_9_3_3_wgs_63_tpt_63_dp_op_CI_CI_unitstride_sbrr_dirReg: ; @fft_rtc_back_len567_factors_7_9_3_3_wgs_63_tpt_63_dp_op_CI_CI_unitstride_sbrr_dirReg
; %bb.0:
	s_clause 0x2
	s_load_b128 s[8:11], s[0:1], 0x0
	s_load_b128 s[4:7], s[0:1], 0x58
	;; [unrolled: 1-line block ×3, first 2 shown]
	v_mul_u32_u24_e32 v1, 0x411, v0
	v_mov_b32_e32 v3, 0
	s_delay_alu instid0(VALU_DEP_2) | instskip(NEXT) | instid1(VALU_DEP_1)
	v_lshrrev_b32_e32 v1, 16, v1
	v_add_nc_u32_e32 v5, s15, v1
	v_mov_b32_e32 v1, 0
	v_mov_b32_e32 v2, 0
	;; [unrolled: 1-line block ×3, first 2 shown]
	s_waitcnt lgkmcnt(0)
	v_cmp_lt_u64_e64 s2, s[10:11], 2
	s_delay_alu instid0(VALU_DEP_1)
	s_and_b32 vcc_lo, exec_lo, s2
	s_cbranch_vccnz .LBB0_8
; %bb.1:
	s_load_b64 s[2:3], s[0:1], 0x10
	v_mov_b32_e32 v1, 0
	v_mov_b32_e32 v2, 0
	s_add_u32 s12, s18, 8
	s_addc_u32 s13, s19, 0
	s_add_u32 s14, s16, 8
	s_addc_u32 s15, s17, 0
	v_dual_mov_b32 v29, v2 :: v_dual_mov_b32 v28, v1
	s_mov_b64 s[22:23], 1
	s_waitcnt lgkmcnt(0)
	s_add_u32 s20, s2, 8
	s_addc_u32 s21, s3, 0
.LBB0_2:                                ; =>This Inner Loop Header: Depth=1
	s_load_b64 s[24:25], s[20:21], 0x0
                                        ; implicit-def: $vgpr30_vgpr31
	s_mov_b32 s2, exec_lo
	s_waitcnt lgkmcnt(0)
	v_or_b32_e32 v4, s25, v6
	s_delay_alu instid0(VALU_DEP_1)
	v_cmpx_ne_u64_e32 0, v[3:4]
	s_xor_b32 s3, exec_lo, s2
	s_cbranch_execz .LBB0_4
; %bb.3:                                ;   in Loop: Header=BB0_2 Depth=1
	v_cvt_f32_u32_e32 v4, s24
	v_cvt_f32_u32_e32 v7, s25
	s_sub_u32 s2, 0, s24
	s_subb_u32 s26, 0, s25
	s_delay_alu instid0(VALU_DEP_1) | instskip(NEXT) | instid1(VALU_DEP_1)
	v_fmac_f32_e32 v4, 0x4f800000, v7
	v_rcp_f32_e32 v4, v4
	s_waitcnt_depctr 0xfff
	v_mul_f32_e32 v4, 0x5f7ffffc, v4
	s_delay_alu instid0(VALU_DEP_1) | instskip(NEXT) | instid1(VALU_DEP_1)
	v_mul_f32_e32 v7, 0x2f800000, v4
	v_trunc_f32_e32 v7, v7
	s_delay_alu instid0(VALU_DEP_1) | instskip(SKIP_1) | instid1(VALU_DEP_2)
	v_fmac_f32_e32 v4, 0xcf800000, v7
	v_cvt_u32_f32_e32 v7, v7
	v_cvt_u32_f32_e32 v4, v4
	s_delay_alu instid0(VALU_DEP_2) | instskip(NEXT) | instid1(VALU_DEP_2)
	v_mul_lo_u32 v8, s2, v7
	v_mul_hi_u32 v9, s2, v4
	v_mul_lo_u32 v10, s26, v4
	s_delay_alu instid0(VALU_DEP_2) | instskip(SKIP_1) | instid1(VALU_DEP_2)
	v_add_nc_u32_e32 v8, v9, v8
	v_mul_lo_u32 v9, s2, v4
	v_add_nc_u32_e32 v8, v8, v10
	s_delay_alu instid0(VALU_DEP_2) | instskip(NEXT) | instid1(VALU_DEP_2)
	v_mul_hi_u32 v10, v4, v9
	v_mul_lo_u32 v11, v4, v8
	v_mul_hi_u32 v12, v4, v8
	v_mul_hi_u32 v13, v7, v9
	v_mul_lo_u32 v9, v7, v9
	v_mul_hi_u32 v14, v7, v8
	v_mul_lo_u32 v8, v7, v8
	v_add_co_u32 v10, vcc_lo, v10, v11
	v_add_co_ci_u32_e32 v11, vcc_lo, 0, v12, vcc_lo
	s_delay_alu instid0(VALU_DEP_2) | instskip(NEXT) | instid1(VALU_DEP_2)
	v_add_co_u32 v9, vcc_lo, v10, v9
	v_add_co_ci_u32_e32 v9, vcc_lo, v11, v13, vcc_lo
	v_add_co_ci_u32_e32 v10, vcc_lo, 0, v14, vcc_lo
	s_delay_alu instid0(VALU_DEP_2) | instskip(NEXT) | instid1(VALU_DEP_2)
	v_add_co_u32 v8, vcc_lo, v9, v8
	v_add_co_ci_u32_e32 v9, vcc_lo, 0, v10, vcc_lo
	s_delay_alu instid0(VALU_DEP_2) | instskip(NEXT) | instid1(VALU_DEP_2)
	v_add_co_u32 v4, vcc_lo, v4, v8
	v_add_co_ci_u32_e32 v7, vcc_lo, v7, v9, vcc_lo
	s_delay_alu instid0(VALU_DEP_2) | instskip(SKIP_1) | instid1(VALU_DEP_3)
	v_mul_hi_u32 v8, s2, v4
	v_mul_lo_u32 v10, s26, v4
	v_mul_lo_u32 v9, s2, v7
	s_delay_alu instid0(VALU_DEP_1) | instskip(SKIP_1) | instid1(VALU_DEP_2)
	v_add_nc_u32_e32 v8, v8, v9
	v_mul_lo_u32 v9, s2, v4
	v_add_nc_u32_e32 v8, v8, v10
	s_delay_alu instid0(VALU_DEP_2) | instskip(NEXT) | instid1(VALU_DEP_2)
	v_mul_hi_u32 v10, v4, v9
	v_mul_lo_u32 v11, v4, v8
	v_mul_hi_u32 v12, v4, v8
	v_mul_hi_u32 v13, v7, v9
	v_mul_lo_u32 v9, v7, v9
	v_mul_hi_u32 v14, v7, v8
	v_mul_lo_u32 v8, v7, v8
	v_add_co_u32 v10, vcc_lo, v10, v11
	v_add_co_ci_u32_e32 v11, vcc_lo, 0, v12, vcc_lo
	s_delay_alu instid0(VALU_DEP_2) | instskip(NEXT) | instid1(VALU_DEP_2)
	v_add_co_u32 v9, vcc_lo, v10, v9
	v_add_co_ci_u32_e32 v9, vcc_lo, v11, v13, vcc_lo
	v_add_co_ci_u32_e32 v10, vcc_lo, 0, v14, vcc_lo
	s_delay_alu instid0(VALU_DEP_2) | instskip(NEXT) | instid1(VALU_DEP_2)
	v_add_co_u32 v8, vcc_lo, v9, v8
	v_add_co_ci_u32_e32 v9, vcc_lo, 0, v10, vcc_lo
	s_delay_alu instid0(VALU_DEP_2) | instskip(NEXT) | instid1(VALU_DEP_2)
	v_add_co_u32 v4, vcc_lo, v4, v8
	v_add_co_ci_u32_e32 v13, vcc_lo, v7, v9, vcc_lo
	s_delay_alu instid0(VALU_DEP_2) | instskip(SKIP_1) | instid1(VALU_DEP_3)
	v_mul_hi_u32 v14, v5, v4
	v_mad_u64_u32 v[9:10], null, v6, v4, 0
	v_mad_u64_u32 v[7:8], null, v5, v13, 0
	;; [unrolled: 1-line block ×3, first 2 shown]
	s_delay_alu instid0(VALU_DEP_2) | instskip(NEXT) | instid1(VALU_DEP_3)
	v_add_co_u32 v4, vcc_lo, v14, v7
	v_add_co_ci_u32_e32 v7, vcc_lo, 0, v8, vcc_lo
	s_delay_alu instid0(VALU_DEP_2) | instskip(NEXT) | instid1(VALU_DEP_2)
	v_add_co_u32 v4, vcc_lo, v4, v9
	v_add_co_ci_u32_e32 v4, vcc_lo, v7, v10, vcc_lo
	v_add_co_ci_u32_e32 v7, vcc_lo, 0, v12, vcc_lo
	s_delay_alu instid0(VALU_DEP_2) | instskip(NEXT) | instid1(VALU_DEP_2)
	v_add_co_u32 v4, vcc_lo, v4, v11
	v_add_co_ci_u32_e32 v9, vcc_lo, 0, v7, vcc_lo
	s_delay_alu instid0(VALU_DEP_2) | instskip(SKIP_1) | instid1(VALU_DEP_3)
	v_mul_lo_u32 v10, s25, v4
	v_mad_u64_u32 v[7:8], null, s24, v4, 0
	v_mul_lo_u32 v11, s24, v9
	s_delay_alu instid0(VALU_DEP_2) | instskip(NEXT) | instid1(VALU_DEP_2)
	v_sub_co_u32 v7, vcc_lo, v5, v7
	v_add3_u32 v8, v8, v11, v10
	s_delay_alu instid0(VALU_DEP_1) | instskip(NEXT) | instid1(VALU_DEP_1)
	v_sub_nc_u32_e32 v10, v6, v8
	v_subrev_co_ci_u32_e64 v10, s2, s25, v10, vcc_lo
	v_add_co_u32 v11, s2, v4, 2
	s_delay_alu instid0(VALU_DEP_1) | instskip(SKIP_3) | instid1(VALU_DEP_3)
	v_add_co_ci_u32_e64 v12, s2, 0, v9, s2
	v_sub_co_u32 v13, s2, v7, s24
	v_sub_co_ci_u32_e32 v8, vcc_lo, v6, v8, vcc_lo
	v_subrev_co_ci_u32_e64 v10, s2, 0, v10, s2
	v_cmp_le_u32_e32 vcc_lo, s24, v13
	s_delay_alu instid0(VALU_DEP_3) | instskip(SKIP_1) | instid1(VALU_DEP_4)
	v_cmp_eq_u32_e64 s2, s25, v8
	v_cndmask_b32_e64 v13, 0, -1, vcc_lo
	v_cmp_le_u32_e32 vcc_lo, s25, v10
	v_cndmask_b32_e64 v14, 0, -1, vcc_lo
	v_cmp_le_u32_e32 vcc_lo, s24, v7
	;; [unrolled: 2-line block ×3, first 2 shown]
	v_cndmask_b32_e64 v15, 0, -1, vcc_lo
	v_cmp_eq_u32_e32 vcc_lo, s25, v10
	s_delay_alu instid0(VALU_DEP_2) | instskip(SKIP_3) | instid1(VALU_DEP_3)
	v_cndmask_b32_e64 v7, v15, v7, s2
	v_cndmask_b32_e32 v10, v14, v13, vcc_lo
	v_add_co_u32 v13, vcc_lo, v4, 1
	v_add_co_ci_u32_e32 v14, vcc_lo, 0, v9, vcc_lo
	v_cmp_ne_u32_e32 vcc_lo, 0, v10
	s_delay_alu instid0(VALU_DEP_2) | instskip(NEXT) | instid1(VALU_DEP_4)
	v_cndmask_b32_e32 v8, v14, v12, vcc_lo
	v_cndmask_b32_e32 v10, v13, v11, vcc_lo
	v_cmp_ne_u32_e32 vcc_lo, 0, v7
	s_delay_alu instid0(VALU_DEP_2)
	v_dual_cndmask_b32 v31, v9, v8 :: v_dual_cndmask_b32 v30, v4, v10
.LBB0_4:                                ;   in Loop: Header=BB0_2 Depth=1
	s_and_not1_saveexec_b32 s2, s3
	s_cbranch_execz .LBB0_6
; %bb.5:                                ;   in Loop: Header=BB0_2 Depth=1
	v_cvt_f32_u32_e32 v4, s24
	s_sub_i32 s3, 0, s24
	v_mov_b32_e32 v31, v3
	s_delay_alu instid0(VALU_DEP_2) | instskip(SKIP_2) | instid1(VALU_DEP_1)
	v_rcp_iflag_f32_e32 v4, v4
	s_waitcnt_depctr 0xfff
	v_mul_f32_e32 v4, 0x4f7ffffe, v4
	v_cvt_u32_f32_e32 v4, v4
	s_delay_alu instid0(VALU_DEP_1) | instskip(NEXT) | instid1(VALU_DEP_1)
	v_mul_lo_u32 v7, s3, v4
	v_mul_hi_u32 v7, v4, v7
	s_delay_alu instid0(VALU_DEP_1) | instskip(NEXT) | instid1(VALU_DEP_1)
	v_add_nc_u32_e32 v4, v4, v7
	v_mul_hi_u32 v4, v5, v4
	s_delay_alu instid0(VALU_DEP_1) | instskip(SKIP_1) | instid1(VALU_DEP_2)
	v_mul_lo_u32 v7, v4, s24
	v_add_nc_u32_e32 v8, 1, v4
	v_sub_nc_u32_e32 v7, v5, v7
	s_delay_alu instid0(VALU_DEP_1) | instskip(SKIP_1) | instid1(VALU_DEP_2)
	v_subrev_nc_u32_e32 v9, s24, v7
	v_cmp_le_u32_e32 vcc_lo, s24, v7
	v_dual_cndmask_b32 v7, v7, v9 :: v_dual_cndmask_b32 v4, v4, v8
	s_delay_alu instid0(VALU_DEP_1) | instskip(NEXT) | instid1(VALU_DEP_2)
	v_cmp_le_u32_e32 vcc_lo, s24, v7
	v_add_nc_u32_e32 v8, 1, v4
	s_delay_alu instid0(VALU_DEP_1)
	v_cndmask_b32_e32 v30, v4, v8, vcc_lo
.LBB0_6:                                ;   in Loop: Header=BB0_2 Depth=1
	s_or_b32 exec_lo, exec_lo, s2
	s_delay_alu instid0(VALU_DEP_1) | instskip(NEXT) | instid1(VALU_DEP_2)
	v_mul_lo_u32 v4, v31, s24
	v_mul_lo_u32 v9, v30, s25
	s_load_b64 s[2:3], s[14:15], 0x0
	v_mad_u64_u32 v[7:8], null, v30, s24, 0
	s_load_b64 s[24:25], s[12:13], 0x0
	s_add_u32 s22, s22, 1
	s_addc_u32 s23, s23, 0
	s_add_u32 s12, s12, 8
	s_addc_u32 s13, s13, 0
	s_add_u32 s14, s14, 8
	s_delay_alu instid0(VALU_DEP_1) | instskip(SKIP_3) | instid1(VALU_DEP_2)
	v_add3_u32 v4, v8, v9, v4
	v_sub_co_u32 v8, vcc_lo, v5, v7
	s_addc_u32 s15, s15, 0
	s_add_u32 s20, s20, 8
	v_sub_co_ci_u32_e32 v6, vcc_lo, v6, v4, vcc_lo
	s_addc_u32 s21, s21, 0
	s_waitcnt lgkmcnt(0)
	s_delay_alu instid0(VALU_DEP_1)
	v_mul_lo_u32 v9, s2, v6
	v_mul_lo_u32 v10, s3, v8
	v_mad_u64_u32 v[4:5], null, s2, v8, v[1:2]
	v_mul_lo_u32 v11, s24, v6
	v_mul_lo_u32 v12, s25, v8
	v_mad_u64_u32 v[6:7], null, s24, v8, v[28:29]
	v_cmp_ge_u64_e64 s2, s[22:23], s[10:11]
	v_add3_u32 v2, v10, v5, v9
	s_delay_alu instid0(VALU_DEP_3) | instskip(NEXT) | instid1(VALU_DEP_4)
	v_dual_mov_b32 v1, v4 :: v_dual_mov_b32 v28, v6
	v_add3_u32 v29, v12, v7, v11
	s_delay_alu instid0(VALU_DEP_4)
	s_and_b32 vcc_lo, exec_lo, s2
	s_cbranch_vccnz .LBB0_9
; %bb.7:                                ;   in Loop: Header=BB0_2 Depth=1
	v_dual_mov_b32 v5, v30 :: v_dual_mov_b32 v6, v31
	s_branch .LBB0_2
.LBB0_8:
	v_dual_mov_b32 v29, v2 :: v_dual_mov_b32 v28, v1
	v_dual_mov_b32 v31, v6 :: v_dual_mov_b32 v30, v5
.LBB0_9:
	s_load_b64 s[0:1], s[0:1], 0x28
	v_mul_hi_u32 v3, 0x4104105, v0
	s_lshl_b64 s[10:11], s[10:11], 3
                                        ; implicit-def: $vgpr32
                                        ; implicit-def: $vgpr34
	s_delay_alu instid0(SALU_CYCLE_1) | instskip(SKIP_4) | instid1(VALU_DEP_1)
	s_add_u32 s2, s18, s10
	s_addc_u32 s3, s19, s11
	s_waitcnt lgkmcnt(0)
	v_cmp_gt_u64_e32 vcc_lo, s[0:1], v[30:31]
	v_cmp_le_u64_e64 s0, s[0:1], v[30:31]
	s_and_saveexec_b32 s1, s0
	s_delay_alu instid0(SALU_CYCLE_1)
	s_xor_b32 s0, exec_lo, s1
; %bb.10:
	v_mul_u32_u24_e32 v1, 63, v3
                                        ; implicit-def: $vgpr3
	s_delay_alu instid0(VALU_DEP_1) | instskip(NEXT) | instid1(VALU_DEP_1)
	v_sub_nc_u32_e32 v32, v0, v1
                                        ; implicit-def: $vgpr0
                                        ; implicit-def: $vgpr1_vgpr2
	v_add_nc_u32_e32 v34, 63, v32
; %bb.11:
	s_and_not1_saveexec_b32 s1, s0
	s_cbranch_execz .LBB0_13
; %bb.12:
	s_add_u32 s10, s16, s10
	s_addc_u32 s11, s17, s11
	v_lshlrev_b64 v[1:2], 4, v[1:2]
	s_load_b64 s[10:11], s[10:11], 0x0
	s_waitcnt lgkmcnt(0)
	v_mul_lo_u32 v6, s11, v30
	v_mul_lo_u32 v7, s10, v31
	v_mad_u64_u32 v[4:5], null, s10, v30, 0
	s_delay_alu instid0(VALU_DEP_1) | instskip(SKIP_1) | instid1(VALU_DEP_2)
	v_add3_u32 v5, v5, v7, v6
	v_mul_u32_u24_e32 v6, 63, v3
	v_lshlrev_b64 v[3:4], 4, v[4:5]
	s_delay_alu instid0(VALU_DEP_2) | instskip(NEXT) | instid1(VALU_DEP_1)
	v_sub_nc_u32_e32 v32, v0, v6
	v_lshlrev_b32_e32 v43, 4, v32
	s_delay_alu instid0(VALU_DEP_3) | instskip(NEXT) | instid1(VALU_DEP_1)
	v_add_co_u32 v0, s0, s4, v3
	v_add_co_ci_u32_e64 v3, s0, s5, v4, s0
	s_delay_alu instid0(VALU_DEP_2) | instskip(NEXT) | instid1(VALU_DEP_1)
	v_add_co_u32 v0, s0, v0, v1
	v_add_co_ci_u32_e64 v1, s0, v3, v2, s0
	s_delay_alu instid0(VALU_DEP_2) | instskip(NEXT) | instid1(VALU_DEP_1)
	;; [unrolled: 3-line block ×3, first 2 shown]
	v_add_co_u32 v33, s0, 0x1000, v16
	v_add_co_ci_u32_e64 v34, s0, 0, v17, s0
	s_clause 0x8
	global_load_b128 v[0:3], v[16:17], off
	global_load_b128 v[4:7], v[16:17], off offset:1008
	global_load_b128 v[8:11], v[16:17], off offset:2016
	;; [unrolled: 1-line block ×8, first 2 shown]
	v_add_nc_u32_e32 v33, 0, v43
	v_add_nc_u32_e32 v34, 63, v32
	s_waitcnt vmcnt(8)
	ds_store_b128 v33, v[0:3]
	s_waitcnt vmcnt(7)
	ds_store_b128 v33, v[4:7] offset:1008
	s_waitcnt vmcnt(6)
	ds_store_b128 v33, v[8:11] offset:2016
	;; [unrolled: 2-line block ×8, first 2 shown]
.LBB0_13:
	s_or_b32 exec_lo, exec_lo, s1
	v_lshl_add_u32 v33, v32, 4, 0
	s_load_b64 s[2:3], s[2:3], 0x0
	s_waitcnt lgkmcnt(0)
	s_barrier
	buffer_gl0_inv
	ds_load_b128 v[24:27], v33 offset:7776
	ds_load_b128 v[35:38], v33 offset:1296
	;; [unrolled: 1-line block ×12, first 2 shown]
	s_mov_b32 s12, 0x37e14327
	s_mov_b32 s16, 0xe976ee23
	;; [unrolled: 1-line block ×12, first 2 shown]
	s_waitcnt lgkmcnt(10)
	v_add_f64 v[55:56], v[35:36], v[24:25]
	v_add_f64 v[57:58], v[37:38], v[26:27]
	s_waitcnt lgkmcnt(8)
	v_add_f64 v[59:60], v[39:40], v[43:44]
	v_add_f64 v[61:62], v[41:42], v[45:46]
	v_add_f64 v[39:40], v[39:40], -v[43:44]
	v_add_f64 v[41:42], v[41:42], -v[45:46]
	s_waitcnt lgkmcnt(2)
	v_add_f64 v[43:44], v[51:52], v[47:48]
	v_add_f64 v[45:46], v[53:54], v[49:50]
	v_add_f64 v[47:48], v[47:48], -v[51:52]
	v_add_f64 v[49:50], v[49:50], -v[53:54]
	;; [unrolled: 1-line block ×4, first 2 shown]
	ds_load_b128 v[35:38], v33
	s_mov_b32 s23, 0xbfd5d0dc
	s_mov_b32 s19, 0x3fe77f67
	;; [unrolled: 1-line block ×8, first 2 shown]
	s_mov_b32 s1, exec_lo
	v_add_f64 v[24:25], v[59:60], v[55:56]
	v_add_f64 v[26:27], v[61:62], v[57:58]
	v_add_f64 v[63:64], v[55:56], -v[43:44]
	v_add_f64 v[65:66], v[57:58], -v[45:46]
	;; [unrolled: 1-line block ×6, first 2 shown]
	v_add_f64 v[79:80], v[47:48], v[39:40]
	v_add_f64 v[81:82], v[49:50], v[41:42]
	v_add_f64 v[47:48], v[51:52], -v[47:48]
	v_add_f64 v[49:50], v[53:54], -v[49:50]
	v_add_f64 v[75:76], v[43:44], v[24:25]
	v_add_f64 v[77:78], v[45:46], v[26:27]
	ds_load_b128 v[24:27], v33 offset:1008
	v_add_f64 v[43:44], v[43:44], -v[59:60]
	v_add_f64 v[45:46], v[45:46], -v[61:62]
	v_mul_f64 v[63:64], v[63:64], s[12:13]
	v_mul_f64 v[65:66], v[65:66], s[12:13]
	;; [unrolled: 1-line block ×6, first 2 shown]
	v_add_f64 v[51:52], v[79:80], v[51:52]
	v_add_f64 v[53:54], v[81:82], v[53:54]
	s_waitcnt lgkmcnt(0)
	s_barrier
	buffer_gl0_inv
	v_add_f64 v[39:40], v[35:36], v[75:76]
	v_add_f64 v[41:42], v[37:38], v[77:78]
	v_add_f64 v[35:36], v[59:60], -v[55:56]
	v_add_f64 v[37:38], v[61:62], -v[57:58]
	v_mul_f64 v[55:56], v[43:44], s[10:11]
	v_mul_f64 v[57:58], v[45:46], s[10:11]
	v_fma_f64 v[43:44], v[43:44], s[10:11], v[63:64]
	v_fma_f64 v[45:46], v[45:46], s[10:11], v[65:66]
	;; [unrolled: 1-line block ×4, first 2 shown]
	v_fma_f64 v[67:68], v[71:72], s[4:5], -v[67:68]
	v_fma_f64 v[69:70], v[73:74], s[4:5], -v[69:70]
	;; [unrolled: 1-line block ×4, first 2 shown]
	v_fma_f64 v[71:72], v[75:76], s[14:15], v[39:40]
	v_fma_f64 v[73:74], v[77:78], s[14:15], v[41:42]
	v_fma_f64 v[63:64], v[35:36], s[20:21], -v[63:64]
	v_fma_f64 v[65:66], v[37:38], s[20:21], -v[65:66]
	;; [unrolled: 1-line block ×4, first 2 shown]
	v_fma_f64 v[75:76], v[51:52], s[26:27], v[59:60]
	v_fma_f64 v[77:78], v[53:54], s[26:27], v[61:62]
	;; [unrolled: 1-line block ×6, first 2 shown]
	v_add_f64 v[67:68], v[43:44], v[71:72]
	v_add_f64 v[69:70], v[45:46], v[73:74]
	;; [unrolled: 1-line block ×7, first 2 shown]
	v_add_f64 v[45:46], v[69:70], -v[75:76]
	v_add_f64 v[47:48], v[63:64], v[59:60]
	v_add_f64 v[49:50], v[65:66], -v[61:62]
	v_add_f64 v[51:52], v[35:36], -v[55:56]
	v_add_f64 v[53:54], v[57:58], v[37:38]
	v_add_f64 v[55:56], v[35:36], v[55:56]
	v_add_f64 v[57:58], v[37:38], -v[57:58]
	v_add_f64 v[59:60], v[63:64], -v[59:60]
	v_add_f64 v[61:62], v[61:62], v[65:66]
	v_add_f64 v[63:64], v[67:68], -v[77:78]
	v_add_f64 v[65:66], v[75:76], v[69:70]
	v_mad_u32_u24 v35, 0x60, v32, v33
	ds_store_b128 v35, v[39:42]
	ds_store_b128 v35, v[43:46] offset:16
	ds_store_b128 v35, v[47:50] offset:32
	;; [unrolled: 1-line block ×6, first 2 shown]
	v_cmpx_gt_u32_e32 18, v32
	s_cbranch_execz .LBB0_15
; %bb.14:
	v_add_f64 v[36:37], v[2:3], v[14:15]
	v_add_f64 v[38:39], v[6:7], v[10:11]
	v_add_f64 v[40:41], v[0:1], v[12:13]
	v_add_f64 v[42:43], v[4:5], v[8:9]
	v_add_f64 v[44:45], v[20:21], -v[16:17]
	v_add_f64 v[4:5], v[4:5], -v[8:9]
	v_add_f64 v[8:9], v[18:19], v[22:23]
	v_add_f64 v[16:17], v[16:17], v[20:21]
	v_add_f64 v[12:13], v[0:1], -v[12:13]
	v_add_f64 v[18:19], v[22:23], -v[18:19]
	;; [unrolled: 1-line block ×4, first 2 shown]
	v_add_f64 v[0:1], v[38:39], v[36:37]
	v_add_f64 v[2:3], v[42:43], v[40:41]
	v_add_f64 v[14:15], v[44:45], -v[4:5]
	v_add_f64 v[20:21], v[36:37], -v[8:9]
	;; [unrolled: 1-line block ×5, first 2 shown]
	v_add_f64 v[4:5], v[44:45], v[4:5]
	v_add_f64 v[50:51], v[6:7], -v[10:11]
	v_add_f64 v[48:49], v[8:9], v[0:1]
	v_add_f64 v[8:9], v[8:9], -v[38:39]
	v_add_f64 v[0:1], v[18:19], -v[6:7]
	v_add_f64 v[52:53], v[16:17], v[2:3]
	v_add_f64 v[16:17], v[16:17], -v[42:43]
	v_add_f64 v[6:7], v[18:19], v[6:7]
	v_mul_f64 v[14:15], v[14:15], s[16:17]
	v_mul_f64 v[20:21], v[20:21], s[12:13]
	;; [unrolled: 1-line block ×4, first 2 shown]
	v_add_f64 v[18:19], v[10:11], -v[18:19]
	v_mul_f64 v[56:57], v[50:51], s[4:5]
	v_add_f64 v[4:5], v[4:5], v[12:13]
	v_add_f64 v[2:3], v[26:27], v[48:49]
	v_add_f64 v[26:27], v[38:39], -v[36:37]
	v_mul_f64 v[36:37], v[8:9], s[10:11]
	v_mul_f64 v[38:39], v[0:1], s[16:17]
	v_add_f64 v[0:1], v[24:25], v[52:53]
	v_add_f64 v[24:25], v[42:43], -v[40:41]
	v_mul_f64 v[40:41], v[16:17], s[10:11]
	v_add_f64 v[6:7], v[6:7], v[10:11]
	v_fma_f64 v[10:11], v[54:55], s[22:23], v[14:15]
	v_fma_f64 v[8:9], v[8:9], s[10:11], v[20:21]
	;; [unrolled: 1-line block ×3, first 2 shown]
	v_fma_f64 v[16:17], v[54:55], s[24:25], -v[44:45]
	v_fma_f64 v[14:15], v[46:47], s[4:5], -v[14:15]
	v_fma_f64 v[42:43], v[48:49], s[14:15], v[2:3]
	v_fma_f64 v[20:21], v[26:27], s[20:21], -v[20:21]
	v_fma_f64 v[26:27], v[26:27], s[18:19], -v[36:37]
	v_fma_f64 v[36:37], v[18:19], s[22:23], v[38:39]
	v_fma_f64 v[44:45], v[52:53], s[14:15], v[0:1]
	v_fma_f64 v[18:19], v[18:19], s[24:25], -v[56:57]
	v_fma_f64 v[22:23], v[24:25], s[20:21], -v[22:23]
	;; [unrolled: 1-line block ×4, first 2 shown]
	v_fma_f64 v[40:41], v[4:5], s[26:27], v[10:11]
	v_fma_f64 v[16:17], v[4:5], s[26:27], v[16:17]
	;; [unrolled: 1-line block ×3, first 2 shown]
	v_add_f64 v[8:9], v[8:9], v[42:43]
	v_add_f64 v[20:21], v[20:21], v[42:43]
	;; [unrolled: 1-line block ×3, first 2 shown]
	v_fma_f64 v[36:37], v[6:7], s[26:27], v[36:37]
	v_add_f64 v[46:47], v[12:13], v[44:45]
	v_fma_f64 v[42:43], v[6:7], s[26:27], v[18:19]
	v_add_f64 v[48:49], v[22:23], v[44:45]
	;; [unrolled: 2-line block ×3, first 2 shown]
	v_add_f64 v[6:7], v[40:41], v[8:9]
	v_add_f64 v[10:11], v[16:17], v[20:21]
	v_add_f64 v[14:15], v[26:27], -v[4:5]
	v_add_f64 v[18:19], v[4:5], v[26:27]
	v_add_f64 v[26:27], v[8:9], -v[40:41]
	;; [unrolled: 2-line block ×5, first 2 shown]
	v_add_f64 v[4:5], v[46:47], -v[36:37]
	v_mad_i32_i24 v36, 0x70, v34, 0
	ds_store_b128 v36, v[0:3]
	ds_store_b128 v36, v[24:27] offset:16
	ds_store_b128 v36, v[20:23] offset:32
	;; [unrolled: 1-line block ×6, first 2 shown]
.LBB0_15:
	s_or_b32 exec_lo, exec_lo, s1
	v_and_b32_e32 v0, 0xff, v32
	s_waitcnt lgkmcnt(0)
	s_barrier
	buffer_gl0_inv
	v_lshl_add_u32 v3, v34, 4, 0
	v_mul_lo_u16 v0, v0, 37
	v_mad_i32_i24 v2, 0xffffffa0, v32, v35
	s_mov_b32 s0, 0x8c811c17
	s_mov_b32 s10, 0xa2cf5039
	;; [unrolled: 1-line block ×3, first 2 shown]
	v_lshrrev_b16 v0, 8, v0
	s_mov_b32 s4, 0x523c161c
	s_mov_b32 s1, 0x3fef838b
	s_mov_b32 s11, 0x3fe8836f
	s_mov_b32 s12, 0x42522d1b
	v_sub_nc_u16 v1, v32, v0
	s_mov_b32 s13, 0xbfee11f6
	s_delay_alu instid0(VALU_DEP_1) | instskip(NEXT) | instid1(VALU_DEP_1)
	v_lshrrev_b16 v1, 1, v1
	v_and_b32_e32 v1, 0x7f, v1
	s_delay_alu instid0(VALU_DEP_1) | instskip(NEXT) | instid1(VALU_DEP_1)
	v_add_nc_u16 v0, v1, v0
	v_lshrrev_b16 v5, 2, v0
	s_delay_alu instid0(VALU_DEP_1) | instskip(SKIP_1) | instid1(VALU_DEP_2)
	v_mul_lo_u16 v0, v5, 7
	v_and_b32_e32 v5, 0xffff, v5
	v_sub_nc_u16 v0, v32, v0
	s_delay_alu instid0(VALU_DEP_1) | instskip(NEXT) | instid1(VALU_DEP_1)
	v_and_b32_e32 v4, 0xff, v0
	v_lshlrev_b32_e32 v0, 7, v4
	v_lshlrev_b32_e32 v4, 4, v4
	s_clause 0x7
	global_load_b128 v[6:9], v0, s[8:9]
	global_load_b128 v[10:13], v0, s[8:9] offset:112
	global_load_b128 v[14:17], v0, s[8:9] offset:48
	;; [unrolled: 1-line block ×7, first 2 shown]
	ds_load_b128 v[48:51], v3
	ds_load_b128 v[52:55], v33 offset:8064
	ds_load_b128 v[56:59], v33 offset:4032
	;; [unrolled: 1-line block ×6, first 2 shown]
	s_waitcnt vmcnt(7) lgkmcnt(6)
	v_mul_f64 v[0:1], v[50:51], v[8:9]
	v_mul_f64 v[8:9], v[48:49], v[8:9]
	s_waitcnt vmcnt(6) lgkmcnt(5)
	v_mul_f64 v[26:27], v[54:55], v[12:13]
	v_mul_f64 v[12:13], v[52:53], v[12:13]
	s_waitcnt vmcnt(5) lgkmcnt(4)
	v_mul_f64 v[76:77], v[56:57], v[16:17]
	s_waitcnt vmcnt(4) lgkmcnt(3)
	v_mul_f64 v[78:79], v[60:61], v[20:21]
	v_mul_f64 v[16:17], v[58:59], v[16:17]
	;; [unrolled: 1-line block ×3, first 2 shown]
	s_waitcnt vmcnt(3) lgkmcnt(2)
	v_mul_f64 v[80:81], v[66:67], v[24:25]
	s_waitcnt vmcnt(2) lgkmcnt(1)
	v_mul_f64 v[82:83], v[70:71], v[38:39]
	v_mul_f64 v[24:25], v[64:65], v[24:25]
	;; [unrolled: 1-line block ×3, first 2 shown]
	v_fma_f64 v[0:1], v[48:49], v[6:7], v[0:1]
	v_fma_f64 v[48:49], v[50:51], v[6:7], -v[8:9]
	v_fma_f64 v[26:27], v[52:53], v[10:11], v[26:27]
	v_fma_f64 v[50:51], v[54:55], v[10:11], -v[12:13]
	v_fma_f64 v[52:53], v[58:59], v[14:15], -v[76:77]
	;; [unrolled: 1-line block ×3, first 2 shown]
	v_fma_f64 v[14:15], v[56:57], v[14:15], v[16:17]
	v_fma_f64 v[16:17], v[60:61], v[18:19], v[20:21]
	;; [unrolled: 1-line block ×4, first 2 shown]
	v_fma_f64 v[22:23], v[66:67], v[22:23], -v[24:25]
	v_fma_f64 v[24:25], v[70:71], v[36:37], -v[38:39]
	ds_load_b128 v[6:9], v33 offset:3024
	ds_load_b128 v[10:13], v33
	s_waitcnt vmcnt(0) lgkmcnt(0)
	s_barrier
	buffer_gl0_inv
	v_mul_f64 v[35:36], v[8:9], v[42:43]
	v_mul_f64 v[37:38], v[6:7], v[42:43]
	;; [unrolled: 1-line block ×4, first 2 shown]
	v_add_f64 v[56:57], v[0:1], -v[26:27]
	v_add_f64 v[58:59], v[48:49], -v[50:51]
	v_add_f64 v[0:1], v[0:1], v[26:27]
	v_add_f64 v[26:27], v[48:49], v[50:51]
	v_add_f64 v[60:61], v[52:53], -v[54:55]
	v_add_f64 v[48:49], v[14:15], v[16:17]
	v_add_f64 v[50:51], v[14:15], -v[16:17]
	v_add_f64 v[62:63], v[18:19], v[20:21]
	v_add_f64 v[66:67], v[52:53], v[54:55]
	;; [unrolled: 1-line block ×3, first 2 shown]
	v_add_f64 v[22:23], v[22:23], -v[24:25]
	v_add_f64 v[18:19], v[18:19], -v[20:21]
	v_fma_f64 v[6:7], v[6:7], v[40:41], v[35:36]
	v_fma_f64 v[8:9], v[8:9], v[40:41], -v[37:38]
	v_fma_f64 v[35:36], v[72:73], v[44:45], v[42:43]
	v_fma_f64 v[37:38], v[74:75], v[44:45], -v[46:47]
	v_mul_f64 v[20:21], v[56:57], s[4:5]
	v_mul_f64 v[24:25], v[58:59], s[4:5]
	v_fma_f64 v[39:40], v[0:1], s[10:11], v[10:11]
	v_fma_f64 v[41:42], v[26:27], s[10:11], v[12:13]
	v_mul_f64 v[68:69], v[60:61], s[0:1]
	v_fma_f64 v[43:44], v[48:49], s[10:11], v[10:11]
	v_mul_f64 v[45:46], v[50:51], s[0:1]
	v_fma_f64 v[70:71], v[62:63], s[10:11], v[10:11]
	s_mov_b32 s5, 0xbfe491b7
	v_fma_f64 v[72:73], v[64:65], s[10:11], v[12:13]
	v_fma_f64 v[74:75], v[66:67], s[10:11], v[12:13]
	v_mul_f64 v[76:77], v[60:61], s[4:5]
	v_mul_f64 v[78:79], v[50:51], s[4:5]
	v_add_f64 v[84:85], v[62:63], v[0:1]
	v_add_f64 v[86:87], v[64:65], v[26:27]
	s_mov_b32 s10, 0x7e0b738b
	s_mov_b32 s11, 0x3fc63a1a
	v_add_f64 v[80:81], v[6:7], v[35:36]
	v_add_f64 v[82:83], v[8:9], v[37:38]
	v_add_f64 v[8:9], v[8:9], -v[37:38]
	v_add_f64 v[6:7], v[6:7], -v[35:36]
	v_fma_f64 v[20:21], v[18:19], s[0:1], v[20:21]
	v_fma_f64 v[24:25], v[22:23], s[0:1], v[24:25]
	v_fma_f64 v[35:36], v[62:63], s[10:11], v[39:40]
	v_fma_f64 v[37:38], v[64:65], s[10:11], v[41:42]
	v_fma_f64 v[39:40], v[0:1], s[10:11], v[43:44]
	v_fma_f64 v[41:42], v[18:19], s[4:5], -v[45:46]
	v_fma_f64 v[43:44], v[22:23], s[4:5], -v[68:69]
	v_fma_f64 v[45:46], v[48:49], s[10:11], v[70:71]
	v_fma_f64 v[68:69], v[66:67], s[10:11], v[72:73]
	;; [unrolled: 1-line block ×5, first 2 shown]
	v_add_f64 v[92:93], v[48:49], v[84:85]
	v_add_f64 v[94:95], v[66:67], v[86:87]
	s_mov_b32 s11, 0x3febb67a
	s_mov_b32 s10, 0xe8584cab
	;; [unrolled: 1-line block ×4, first 2 shown]
	v_add_f64 v[76:77], v[50:51], v[56:57]
	v_add_f64 v[78:79], v[60:61], v[58:59]
	s_mov_b32 s0, 0x748a0bf8
	s_mov_b32 s1, 0x3fd5e3a8
	v_add_f64 v[84:85], v[80:81], v[84:85]
	v_add_f64 v[86:87], v[82:83], v[86:87]
	;; [unrolled: 1-line block ×4, first 2 shown]
	v_fma_f64 v[20:21], v[6:7], s[10:11], v[20:21]
	v_fma_f64 v[24:25], v[8:9], s[10:11], v[24:25]
	v_fma_f64 v[35:36], v[80:81], -0.5, v[35:36]
	v_fma_f64 v[37:38], v[82:83], -0.5, v[37:38]
	;; [unrolled: 1-line block ×3, first 2 shown]
	v_fma_f64 v[41:42], v[6:7], s[10:11], v[41:42]
	v_fma_f64 v[43:44], v[8:9], s[10:11], v[43:44]
	v_fma_f64 v[45:46], v[80:81], -0.5, v[45:46]
	v_fma_f64 v[68:69], v[82:83], -0.5, v[68:69]
	;; [unrolled: 1-line block ×3, first 2 shown]
	v_fma_f64 v[8:9], v[8:9], s[4:5], v[72:73]
	v_fma_f64 v[6:7], v[6:7], s[4:5], v[74:75]
	v_add_f64 v[72:73], v[76:77], -v[18:19]
	v_add_f64 v[74:75], v[78:79], -v[22:23]
	v_add_f64 v[14:15], v[14:15], v[84:85]
	v_add_f64 v[52:53], v[52:53], v[86:87]
	v_fma_f64 v[76:77], v[92:93], -0.5, v[88:89]
	v_fma_f64 v[78:79], v[94:95], -0.5, v[90:91]
	v_fma_f64 v[80:81], v[50:51], s[0:1], v[20:21]
	v_fma_f64 v[50:51], v[60:61], s[0:1], v[24:25]
	;; [unrolled: 1-line block ×12, first 2 shown]
	v_add_nc_u32_e32 v6, 0x7e, v32
	v_mul_f64 v[41:42], v[72:73], s[10:11]
	v_mul_f64 v[39:40], v[74:75], s[10:11]
	v_add_f64 v[7:8], v[16:17], v[14:15]
	v_add_f64 v[43:44], v[54:55], v[52:53]
	v_fma_f64 v[14:15], v[74:75], s[4:5], v[76:77]
	v_fma_f64 v[16:17], v[72:73], s[10:11], v[78:79]
	s_mov_b32 s4, 0xe8584caa
	s_delay_alu instid0(SALU_CYCLE_1)
	s_mov_b32 s10, s4
	v_add_f64 v[18:19], v[20:21], -v[50:51]
	v_add_f64 v[20:21], v[80:81], v[35:36]
	v_add_f64 v[22:23], v[0:1], -v[47:48]
	v_add_f64 v[24:25], v[56:57], v[24:25]
	v_and_b32_e32 v0, 0xff, v6
	v_add_f64 v[35:36], v[37:38], -v[58:59]
	v_add_f64 v[37:38], v[60:61], v[26:27]
	s_delay_alu instid0(VALU_DEP_3) | instskip(NEXT) | instid1(VALU_DEP_1)
	v_mul_lo_u16 v0, v0, 5
	v_lshrrev_b16 v0, 8, v0
	s_delay_alu instid0(VALU_DEP_1) | instskip(NEXT) | instid1(VALU_DEP_1)
	v_sub_nc_u16 v1, v6, v0
	v_lshrrev_b16 v1, 1, v1
	v_add_f64 v[7:8], v[10:11], v[7:8]
	v_add_f64 v[9:10], v[12:13], v[43:44]
	v_fma_f64 v[39:40], v[39:40], 2.0, v[14:15]
	v_fma_f64 v[41:42], v[41:42], -2.0, v[16:17]
	v_and_b32_e32 v1, 0x7f, v1
	s_delay_alu instid0(VALU_DEP_1) | instskip(SKIP_3) | instid1(VALU_DEP_4)
	v_add_nc_u16 v0, v1, v0
	v_mov_b32_e32 v1, 0
	v_fma_f64 v[43:44], v[50:51], 2.0, v[18:19]
	v_fma_f64 v[45:46], v[80:81], -2.0, v[20:21]
	v_lshrrev_b16 v11, 5, v0
	v_fma_f64 v[47:48], v[47:48], 2.0, v[22:23]
	v_fma_f64 v[49:50], v[56:57], -2.0, v[24:25]
	v_lshlrev_b32_e32 v0, 1, v32
	v_fma_f64 v[51:52], v[58:59], 2.0, v[35:36]
	v_fma_f64 v[53:54], v[60:61], -2.0, v[37:38]
	v_mul_lo_u16 v13, v11, 63
	s_delay_alu instid0(VALU_DEP_4) | instskip(SKIP_1) | instid1(VALU_DEP_3)
	v_lshlrev_b64 v[11:12], 4, v[0:1]
	v_mul_u32_u24_e32 v0, 0x3f0, v5
	v_sub_nc_u16 v5, v6, v13
	s_delay_alu instid0(VALU_DEP_3) | instskip(NEXT) | instid1(VALU_DEP_1)
	v_add_co_u32 v63, s0, s8, v11
	v_add_co_ci_u32_e64 v64, s0, s9, v12, s0
	s_delay_alu instid0(VALU_DEP_4) | instskip(NEXT) | instid1(VALU_DEP_4)
	v_add3_u32 v0, 0, v0, v4
	v_and_b32_e32 v27, 0xff, v5
	ds_store_b128 v0, v[7:10]
	ds_store_b128 v0, v[18:21] offset:112
	ds_store_b128 v0, v[14:17] offset:336
	;; [unrolled: 1-line block ×8, first 2 shown]
	s_waitcnt lgkmcnt(0)
	s_barrier
	buffer_gl0_inv
	s_clause 0x1
	global_load_b128 v[7:10], v[63:64], off offset:896
	global_load_b128 v[11:14], v[63:64], off offset:912
	v_lshlrev_b32_e32 v0, 5, v27
	s_clause 0x1
	global_load_b128 v[15:18], v0, s[8:9] offset:896
	global_load_b128 v[19:22], v0, s[8:9] offset:912
	ds_load_b128 v[23:26], v33 offset:3024
	ds_load_b128 v[35:38], v33 offset:6048
	;; [unrolled: 1-line block ×6, first 2 shown]
	ds_load_b128 v[55:58], v33
	ds_load_b128 v[59:62], v3
	v_lshlrev_b32_e32 v0, 1, v34
	s_waitcnt vmcnt(3) lgkmcnt(7)
	v_mul_f64 v[4:5], v[25:26], v[9:10]
	s_waitcnt vmcnt(2) lgkmcnt(6)
	v_mul_f64 v[65:66], v[37:38], v[13:14]
	v_mul_f64 v[67:68], v[23:24], v[9:10]
	;; [unrolled: 1-line block ×3, first 2 shown]
	s_waitcnt lgkmcnt(5)
	v_mul_f64 v[71:72], v[41:42], v[9:10]
	s_waitcnt lgkmcnt(4)
	v_mul_f64 v[73:74], v[45:46], v[13:14]
	v_mul_f64 v[9:10], v[39:40], v[9:10]
	;; [unrolled: 1-line block ×3, first 2 shown]
	s_waitcnt vmcnt(1) lgkmcnt(3)
	v_mul_f64 v[75:76], v[49:50], v[17:18]
	s_waitcnt vmcnt(0) lgkmcnt(2)
	v_mul_f64 v[77:78], v[53:54], v[21:22]
	v_mul_f64 v[17:18], v[47:48], v[17:18]
	;; [unrolled: 1-line block ×3, first 2 shown]
	v_fma_f64 v[4:5], v[23:24], v[7:8], v[4:5]
	v_fma_f64 v[23:24], v[35:36], v[11:12], v[65:66]
	v_fma_f64 v[25:26], v[25:26], v[7:8], -v[67:68]
	v_fma_f64 v[35:36], v[37:38], v[11:12], -v[69:70]
	v_fma_f64 v[37:38], v[39:40], v[7:8], v[71:72]
	v_fma_f64 v[39:40], v[43:44], v[11:12], v[73:74]
	v_fma_f64 v[41:42], v[41:42], v[7:8], -v[9:10]
	v_fma_f64 v[13:14], v[45:46], v[11:12], -v[13:14]
	;; [unrolled: 4-line block ×3, first 2 shown]
	ds_load_b128 v[7:10], v2 offset:2016
	s_waitcnt lgkmcnt(0)
	s_barrier
	buffer_gl0_inv
	v_add_f64 v[53:54], v[55:56], v[4:5]
	v_add_f64 v[19:20], v[4:5], v[23:24]
	v_add_f64 v[4:5], v[4:5], -v[23:24]
	v_add_f64 v[21:22], v[25:26], v[35:36]
	v_add_f64 v[65:66], v[25:26], -v[35:36]
	v_add_f64 v[45:46], v[37:38], v[39:40]
	v_add_f64 v[25:26], v[57:58], v[25:26]
	;; [unrolled: 1-line block ×7, first 2 shown]
	v_add_f64 v[41:42], v[41:42], -v[13:14]
	v_add_f64 v[71:72], v[7:8], v[11:12]
	v_add_f64 v[73:74], v[9:10], v[15:16]
	v_add_f64 v[75:76], v[11:12], -v[43:44]
	v_fma_f64 v[55:56], v[19:20], -0.5, v[55:56]
	v_fma_f64 v[57:58], v[21:22], -0.5, v[57:58]
	;; [unrolled: 1-line block ×3, first 2 shown]
	v_add_f64 v[59:60], v[37:38], -v[39:40]
	v_fma_f64 v[47:48], v[47:48], -0.5, v[61:62]
	v_add_f64 v[61:62], v[15:16], -v[17:18]
	v_fma_f64 v[49:50], v[49:50], -0.5, v[7:8]
	v_add_f64 v[7:8], v[53:54], v[23:24]
	v_fma_f64 v[51:52], v[51:52], -0.5, v[9:10]
	v_add_f64 v[9:10], v[25:26], v[35:36]
	v_add_f64 v[11:12], v[67:68], v[39:40]
	v_add_f64 v[13:14], v[69:70], v[13:14]
	v_add_f64 v[15:16], v[71:72], v[43:44]
	v_add_f64 v[17:18], v[73:74], v[17:18]
	v_fma_f64 v[19:20], v[65:66], s[4:5], v[55:56]
	v_fma_f64 v[23:24], v[65:66], s[10:11], v[55:56]
	v_fma_f64 v[21:22], v[4:5], s[10:11], v[57:58]
	v_fma_f64 v[25:26], v[4:5], s[4:5], v[57:58]
	v_fma_f64 v[35:36], v[41:42], s[4:5], v[45:46]
	v_fma_f64 v[39:40], v[41:42], s[10:11], v[45:46]
	v_fma_f64 v[37:38], v[59:60], s[10:11], v[47:48]
	v_fma_f64 v[41:42], v[59:60], s[4:5], v[47:48]
	v_fma_f64 v[43:44], v[61:62], s[4:5], v[49:50]
	v_fma_f64 v[47:48], v[61:62], s[10:11], v[49:50]
	v_fma_f64 v[45:46], v[75:76], s[10:11], v[51:52]
	v_fma_f64 v[49:50], v[75:76], s[4:5], v[51:52]
	v_lshlrev_b64 v[4:5], 4, v[0:1]
	v_lshlrev_b32_e32 v0, 1, v6
	s_delay_alu instid0(VALU_DEP_1) | instskip(NEXT) | instid1(VALU_DEP_3)
	v_lshlrev_b64 v[51:52], 4, v[0:1]
	v_add_co_u32 v53, s0, s8, v4
	s_delay_alu instid0(VALU_DEP_1)
	v_add_co_ci_u32_e64 v54, s0, s9, v5, s0
	v_lshl_add_u32 v0, v27, 4, 0
	ds_store_b128 v33, v[7:10]
	ds_store_b128 v33, v[19:22] offset:1008
	ds_store_b128 v33, v[11:14] offset:3024
	;; [unrolled: 1-line block ×8, first 2 shown]
	s_waitcnt lgkmcnt(0)
	s_barrier
	buffer_gl0_inv
	s_clause 0x1
	global_load_b128 v[4:7], v[63:64], off offset:2912
	global_load_b128 v[8:11], v[63:64], off offset:2928
	v_add_co_u32 v24, s0, s8, v51
	s_delay_alu instid0(VALU_DEP_1)
	v_add_co_ci_u32_e64 v25, s0, s9, v52, s0
	s_clause 0x3
	global_load_b128 v[12:15], v[53:54], off offset:2912
	global_load_b128 v[16:19], v[53:54], off offset:2928
	;; [unrolled: 1-line block ×4, first 2 shown]
	ds_load_b128 v[34:37], v33 offset:3024
	ds_load_b128 v[38:41], v33 offset:6048
	;; [unrolled: 1-line block ×6, first 2 shown]
	ds_load_b128 v[58:61], v33
	ds_load_b128 v[62:65], v3
	s_waitcnt vmcnt(5) lgkmcnt(7)
	v_mul_f64 v[66:67], v[36:37], v[6:7]
	s_waitcnt vmcnt(4) lgkmcnt(6)
	v_mul_f64 v[68:69], v[40:41], v[10:11]
	v_mul_f64 v[6:7], v[34:35], v[6:7]
	v_mul_f64 v[10:11], v[38:39], v[10:11]
	s_waitcnt vmcnt(3) lgkmcnt(5)
	v_mul_f64 v[70:71], v[44:45], v[14:15]
	s_waitcnt vmcnt(2) lgkmcnt(4)
	v_mul_f64 v[72:73], v[48:49], v[18:19]
	v_mul_f64 v[14:15], v[42:43], v[14:15]
	v_mul_f64 v[18:19], v[46:47], v[18:19]
	;; [unrolled: 6-line block ×3, first 2 shown]
	v_fma_f64 v[34:35], v[34:35], v[4:5], v[66:67]
	v_fma_f64 v[38:39], v[38:39], v[8:9], v[68:69]
	v_fma_f64 v[36:37], v[36:37], v[4:5], -v[6:7]
	v_fma_f64 v[8:9], v[40:41], v[8:9], -v[10:11]
	v_fma_f64 v[10:11], v[42:43], v[12:13], v[70:71]
	v_fma_f64 v[40:41], v[46:47], v[16:17], v[72:73]
	v_fma_f64 v[12:13], v[44:45], v[12:13], -v[14:15]
	v_fma_f64 v[14:15], v[48:49], v[16:17], -v[18:19]
	;; [unrolled: 4-line block ×3, first 2 shown]
	ds_load_b128 v[4:7], v2 offset:2016
	s_waitcnt lgkmcnt(0)
	s_barrier
	buffer_gl0_inv
	v_add_f64 v[50:51], v[58:59], v[34:35]
	v_add_f64 v[24:25], v[34:35], v[38:39]
	v_add_f64 v[34:35], v[34:35], -v[38:39]
	v_add_f64 v[26:27], v[36:37], v[8:9]
	v_add_f64 v[52:53], v[36:37], -v[8:9]
	v_add_f64 v[42:43], v[10:11], v[40:41]
	v_add_f64 v[36:37], v[60:61], v[36:37]
	;; [unrolled: 1-line block ×9, first 2 shown]
	v_fma_f64 v[24:25], v[24:25], -0.5, v[58:59]
	v_add_f64 v[58:59], v[12:13], -v[14:15]
	v_fma_f64 v[26:27], v[26:27], -0.5, v[60:61]
	v_add_f64 v[60:61], v[10:11], -v[40:41]
	;; [unrolled: 2-line block ×4, first 2 shown]
	v_fma_f64 v[46:47], v[46:47], -0.5, v[4:5]
	v_add_f64 v[4:5], v[50:51], v[38:39]
	v_fma_f64 v[48:49], v[48:49], -0.5, v[6:7]
	v_add_f64 v[6:7], v[36:37], v[8:9]
	v_add_f64 v[12:13], v[66:67], v[18:19]
	;; [unrolled: 1-line block ×5, first 2 shown]
	v_fma_f64 v[16:17], v[52:53], s[4:5], v[24:25]
	v_fma_f64 v[20:21], v[52:53], s[10:11], v[24:25]
	;; [unrolled: 1-line block ×12, first 2 shown]
	ds_store_b128 v33, v[4:7]
	ds_store_b128 v33, v[16:19] offset:3024
	ds_store_b128 v33, v[20:23] offset:6048
	ds_store_b128 v3, v[8:11]
	ds_store_b128 v3, v[24:27] offset:3024
	ds_store_b128 v3, v[34:37] offset:6048
	;; [unrolled: 1-line block ×5, first 2 shown]
	s_waitcnt lgkmcnt(0)
	s_barrier
	buffer_gl0_inv
	s_and_saveexec_b32 s0, vcc_lo
	s_cbranch_execz .LBB0_17
; %bb.16:
	v_mul_lo_u32 v0, s3, v30
	v_mul_lo_u32 v4, s2, v31
	v_mad_u64_u32 v[2:3], null, s2, v30, 0
	v_mov_b32_e32 v33, v1
	v_lshlrev_b64 v[10:11], 4, v[28:29]
	v_lshl_add_u32 v30, v32, 4, 0
	s_delay_alu instid0(VALU_DEP_4) | instskip(SKIP_2) | instid1(VALU_DEP_3)
	v_add3_u32 v3, v3, v4, v0
	v_add_nc_u32_e32 v0, 63, v32
	v_lshlrev_b64 v[12:13], 4, v[32:33]
	v_lshlrev_b64 v[14:15], 4, v[2:3]
	ds_load_b128 v[2:5], v30
	ds_load_b128 v[6:9], v30 offset:1008
	v_lshlrev_b64 v[18:19], 4, v[0:1]
	v_add_nc_u32_e32 v0, 0x7e, v32
	v_add_co_u32 v14, vcc_lo, s6, v14
	v_add_co_ci_u32_e32 v15, vcc_lo, s7, v15, vcc_lo
	s_delay_alu instid0(VALU_DEP_3) | instskip(NEXT) | instid1(VALU_DEP_3)
	v_lshlrev_b64 v[20:21], 4, v[0:1]
	v_add_co_u32 v31, vcc_lo, v14, v10
	s_delay_alu instid0(VALU_DEP_3) | instskip(SKIP_1) | instid1(VALU_DEP_3)
	v_add_co_ci_u32_e32 v33, vcc_lo, v15, v11, vcc_lo
	v_add_nc_u32_e32 v0, 0xbd, v32
	v_add_co_u32 v22, vcc_lo, v31, v12
	s_delay_alu instid0(VALU_DEP_3)
	v_add_co_ci_u32_e32 v23, vcc_lo, v33, v13, vcc_lo
	ds_load_b128 v[10:13], v30 offset:2016
	ds_load_b128 v[14:17], v30 offset:3024
	v_add_co_u32 v18, vcc_lo, v31, v18
	v_lshlrev_b64 v[24:25], 4, v[0:1]
	v_add_nc_u32_e32 v0, 0xfc, v32
	v_add_co_ci_u32_e32 v19, vcc_lo, v33, v19, vcc_lo
	v_add_co_u32 v20, vcc_lo, v31, v20
	v_add_co_ci_u32_e32 v21, vcc_lo, v33, v21, vcc_lo
	s_delay_alu instid0(VALU_DEP_4)
	v_lshlrev_b64 v[26:27], 4, v[0:1]
	v_add_nc_u32_e32 v0, 0x13b, v32
	v_add_co_u32 v24, vcc_lo, v31, v24
	v_add_co_ci_u32_e32 v25, vcc_lo, v33, v25, vcc_lo
	s_waitcnt lgkmcnt(3)
	global_store_b128 v[22:23], v[2:5], off
	s_waitcnt lgkmcnt(2)
	global_store_b128 v[18:19], v[6:9], off
	s_waitcnt lgkmcnt(1)
	global_store_b128 v[20:21], v[10:13], off
	s_waitcnt lgkmcnt(0)
	global_store_b128 v[24:25], v[14:17], off
	v_lshlrev_b64 v[10:11], 4, v[0:1]
	v_add_co_u32 v22, vcc_lo, v31, v26
	v_add_nc_u32_e32 v0, 0x17a, v32
	v_add_co_ci_u32_e32 v23, vcc_lo, v33, v27, vcc_lo
	s_delay_alu instid0(VALU_DEP_4)
	v_add_co_u32 v26, vcc_lo, v31, v10
	ds_load_b128 v[2:5], v30 offset:4032
	ds_load_b128 v[6:9], v30 offset:5040
	v_add_co_ci_u32_e32 v27, vcc_lo, v33, v11, vcc_lo
	ds_load_b128 v[10:13], v30 offset:6048
	ds_load_b128 v[14:17], v30 offset:7056
	;; [unrolled: 1-line block ×3, first 2 shown]
	v_lshlrev_b64 v[24:25], 4, v[0:1]
	v_add_nc_u32_e32 v0, 0x1b9, v32
	s_delay_alu instid0(VALU_DEP_1) | instskip(SKIP_1) | instid1(VALU_DEP_4)
	v_lshlrev_b64 v[28:29], 4, v[0:1]
	v_add_nc_u32_e32 v0, 0x1f8, v32
	v_add_co_u32 v24, vcc_lo, v31, v24
	v_add_co_ci_u32_e32 v25, vcc_lo, v33, v25, vcc_lo
	s_delay_alu instid0(VALU_DEP_3) | instskip(SKIP_2) | instid1(VALU_DEP_3)
	v_lshlrev_b64 v[0:1], 4, v[0:1]
	v_add_co_u32 v28, vcc_lo, v31, v28
	v_add_co_ci_u32_e32 v29, vcc_lo, v33, v29, vcc_lo
	v_add_co_u32 v0, vcc_lo, v31, v0
	s_delay_alu instid0(VALU_DEP_4)
	v_add_co_ci_u32_e32 v1, vcc_lo, v33, v1, vcc_lo
	s_waitcnt lgkmcnt(4)
	global_store_b128 v[22:23], v[2:5], off
	s_waitcnt lgkmcnt(3)
	global_store_b128 v[26:27], v[6:9], off
	;; [unrolled: 2-line block ×5, first 2 shown]
.LBB0_17:
	s_nop 0
	s_sendmsg sendmsg(MSG_DEALLOC_VGPRS)
	s_endpgm
	.section	.rodata,"a",@progbits
	.p2align	6, 0x0
	.amdhsa_kernel fft_rtc_back_len567_factors_7_9_3_3_wgs_63_tpt_63_dp_op_CI_CI_unitstride_sbrr_dirReg
		.amdhsa_group_segment_fixed_size 0
		.amdhsa_private_segment_fixed_size 0
		.amdhsa_kernarg_size 104
		.amdhsa_user_sgpr_count 15
		.amdhsa_user_sgpr_dispatch_ptr 0
		.amdhsa_user_sgpr_queue_ptr 0
		.amdhsa_user_sgpr_kernarg_segment_ptr 1
		.amdhsa_user_sgpr_dispatch_id 0
		.amdhsa_user_sgpr_private_segment_size 0
		.amdhsa_wavefront_size32 1
		.amdhsa_uses_dynamic_stack 0
		.amdhsa_enable_private_segment 0
		.amdhsa_system_sgpr_workgroup_id_x 1
		.amdhsa_system_sgpr_workgroup_id_y 0
		.amdhsa_system_sgpr_workgroup_id_z 0
		.amdhsa_system_sgpr_workgroup_info 0
		.amdhsa_system_vgpr_workitem_id 0
		.amdhsa_next_free_vgpr 96
		.amdhsa_next_free_sgpr 28
		.amdhsa_reserve_vcc 1
		.amdhsa_float_round_mode_32 0
		.amdhsa_float_round_mode_16_64 0
		.amdhsa_float_denorm_mode_32 3
		.amdhsa_float_denorm_mode_16_64 3
		.amdhsa_dx10_clamp 1
		.amdhsa_ieee_mode 1
		.amdhsa_fp16_overflow 0
		.amdhsa_workgroup_processor_mode 1
		.amdhsa_memory_ordered 1
		.amdhsa_forward_progress 0
		.amdhsa_shared_vgpr_count 0
		.amdhsa_exception_fp_ieee_invalid_op 0
		.amdhsa_exception_fp_denorm_src 0
		.amdhsa_exception_fp_ieee_div_zero 0
		.amdhsa_exception_fp_ieee_overflow 0
		.amdhsa_exception_fp_ieee_underflow 0
		.amdhsa_exception_fp_ieee_inexact 0
		.amdhsa_exception_int_div_zero 0
	.end_amdhsa_kernel
	.text
.Lfunc_end0:
	.size	fft_rtc_back_len567_factors_7_9_3_3_wgs_63_tpt_63_dp_op_CI_CI_unitstride_sbrr_dirReg, .Lfunc_end0-fft_rtc_back_len567_factors_7_9_3_3_wgs_63_tpt_63_dp_op_CI_CI_unitstride_sbrr_dirReg
                                        ; -- End function
	.section	.AMDGPU.csdata,"",@progbits
; Kernel info:
; codeLenInByte = 7512
; NumSgprs: 30
; NumVgprs: 96
; ScratchSize: 0
; MemoryBound: 0
; FloatMode: 240
; IeeeMode: 1
; LDSByteSize: 0 bytes/workgroup (compile time only)
; SGPRBlocks: 3
; VGPRBlocks: 11
; NumSGPRsForWavesPerEU: 30
; NumVGPRsForWavesPerEU: 96
; Occupancy: 16
; WaveLimiterHint : 1
; COMPUTE_PGM_RSRC2:SCRATCH_EN: 0
; COMPUTE_PGM_RSRC2:USER_SGPR: 15
; COMPUTE_PGM_RSRC2:TRAP_HANDLER: 0
; COMPUTE_PGM_RSRC2:TGID_X_EN: 1
; COMPUTE_PGM_RSRC2:TGID_Y_EN: 0
; COMPUTE_PGM_RSRC2:TGID_Z_EN: 0
; COMPUTE_PGM_RSRC2:TIDIG_COMP_CNT: 0
	.text
	.p2alignl 7, 3214868480
	.fill 96, 4, 3214868480
	.type	__hip_cuid_9df1ec8e587efe85,@object ; @__hip_cuid_9df1ec8e587efe85
	.section	.bss,"aw",@nobits
	.globl	__hip_cuid_9df1ec8e587efe85
__hip_cuid_9df1ec8e587efe85:
	.byte	0                               ; 0x0
	.size	__hip_cuid_9df1ec8e587efe85, 1

	.ident	"AMD clang version 19.0.0git (https://github.com/RadeonOpenCompute/llvm-project roc-6.4.0 25133 c7fe45cf4b819c5991fe208aaa96edf142730f1d)"
	.section	".note.GNU-stack","",@progbits
	.addrsig
	.addrsig_sym __hip_cuid_9df1ec8e587efe85
	.amdgpu_metadata
---
amdhsa.kernels:
  - .args:
      - .actual_access:  read_only
        .address_space:  global
        .offset:         0
        .size:           8
        .value_kind:     global_buffer
      - .offset:         8
        .size:           8
        .value_kind:     by_value
      - .actual_access:  read_only
        .address_space:  global
        .offset:         16
        .size:           8
        .value_kind:     global_buffer
      - .actual_access:  read_only
        .address_space:  global
        .offset:         24
        .size:           8
        .value_kind:     global_buffer
      - .actual_access:  read_only
        .address_space:  global
        .offset:         32
        .size:           8
        .value_kind:     global_buffer
      - .offset:         40
        .size:           8
        .value_kind:     by_value
      - .actual_access:  read_only
        .address_space:  global
        .offset:         48
        .size:           8
        .value_kind:     global_buffer
      - .actual_access:  read_only
        .address_space:  global
        .offset:         56
        .size:           8
        .value_kind:     global_buffer
      - .offset:         64
        .size:           4
        .value_kind:     by_value
      - .actual_access:  read_only
        .address_space:  global
        .offset:         72
        .size:           8
        .value_kind:     global_buffer
      - .actual_access:  read_only
        .address_space:  global
        .offset:         80
        .size:           8
        .value_kind:     global_buffer
      - .actual_access:  read_only
        .address_space:  global
        .offset:         88
        .size:           8
        .value_kind:     global_buffer
      - .actual_access:  write_only
        .address_space:  global
        .offset:         96
        .size:           8
        .value_kind:     global_buffer
    .group_segment_fixed_size: 0
    .kernarg_segment_align: 8
    .kernarg_segment_size: 104
    .language:       OpenCL C
    .language_version:
      - 2
      - 0
    .max_flat_workgroup_size: 63
    .name:           fft_rtc_back_len567_factors_7_9_3_3_wgs_63_tpt_63_dp_op_CI_CI_unitstride_sbrr_dirReg
    .private_segment_fixed_size: 0
    .sgpr_count:     30
    .sgpr_spill_count: 0
    .symbol:         fft_rtc_back_len567_factors_7_9_3_3_wgs_63_tpt_63_dp_op_CI_CI_unitstride_sbrr_dirReg.kd
    .uniform_work_group_size: 1
    .uses_dynamic_stack: false
    .vgpr_count:     96
    .vgpr_spill_count: 0
    .wavefront_size: 32
    .workgroup_processor_mode: 1
amdhsa.target:   amdgcn-amd-amdhsa--gfx1100
amdhsa.version:
  - 1
  - 2
...

	.end_amdgpu_metadata
